;; amdgpu-corpus repo=ROCm/rocFFT kind=compiled arch=gfx906 opt=O3
	.text
	.amdgcn_target "amdgcn-amd-amdhsa--gfx906"
	.amdhsa_code_object_version 6
	.protected	fft_rtc_fwd_len17_factors_17_wgs_120_tpt_1_dp_op_CI_CI_sbrc_erc_z_xy_unaligned ; -- Begin function fft_rtc_fwd_len17_factors_17_wgs_120_tpt_1_dp_op_CI_CI_sbrc_erc_z_xy_unaligned
	.globl	fft_rtc_fwd_len17_factors_17_wgs_120_tpt_1_dp_op_CI_CI_sbrc_erc_z_xy_unaligned
	.p2align	8
	.type	fft_rtc_fwd_len17_factors_17_wgs_120_tpt_1_dp_op_CI_CI_sbrc_erc_z_xy_unaligned,@function
fft_rtc_fwd_len17_factors_17_wgs_120_tpt_1_dp_op_CI_CI_sbrc_erc_z_xy_unaligned: ; @fft_rtc_fwd_len17_factors_17_wgs_120_tpt_1_dp_op_CI_CI_sbrc_erc_z_xy_unaligned
; %bb.0:
	s_load_dwordx8 s[8:15], s[4:5], 0x8
	s_waitcnt lgkmcnt(0)
	s_load_dwordx4 s[0:3], s[10:11], 0x8
	s_load_dwordx4 s[16:19], s[12:13], 0x0
	s_load_dword s7, s[12:13], 0x10
	s_waitcnt lgkmcnt(0)
	s_add_i32 s1, s0, -1
	s_mul_hi_u32 s1, s1, 0x88888889
	s_lshr_b32 s1, s1, 6
	s_add_i32 s3, s1, 1
	s_mul_i32 s2, s3, s2
	v_cvt_f32_u32_e32 v2, s2
	v_cvt_f32_u32_e32 v1, s3
	s_sub_i32 s10, 0, s2
	v_rcp_iflag_f32_e32 v2, v2
	v_rcp_iflag_f32_e32 v1, v1
	v_mul_f32_e32 v2, 0x4f7ffffe, v2
	v_cvt_u32_f32_e32 v2, v2
	v_mul_f32_e32 v1, 0x4f7ffffe, v1
	v_cvt_u32_f32_e32 v1, v1
	v_readfirstlane_b32 s19, v2
	s_mul_i32 s10, s10, s19
	s_mul_hi_u32 s10, s19, s10
	s_add_i32 s19, s19, s10
	s_mul_hi_u32 s10, s6, s19
	s_mul_i32 s19, s10, s2
	s_sub_i32 s19, s6, s19
	s_add_i32 s20, s10, 1
	s_sub_i32 s21, s19, s2
	s_cmp_ge_u32 s19, s2
	s_cselect_b32 s10, s20, s10
	s_cselect_b32 s19, s21, s19
	s_add_i32 s20, s10, 1
	s_cmp_ge_u32 s19, s2
	v_readfirstlane_b32 s11, v1
	s_cselect_b32 s33, s20, s10
	s_not_b32 s1, s1
	s_mul_i32 s1, s1, s11
	s_mul_i32 s2, s33, s2
	s_mul_hi_u32 s1, s11, s1
	s_sub_i32 s2, s6, s2
	s_add_i32 s11, s11, s1
	s_mul_hi_u32 s1, s2, s11
	s_mul_i32 s10, s1, s3
	s_sub_i32 s2, s2, s10
	s_add_i32 s19, s1, 1
	s_sub_i32 s10, s2, s3
	s_cmp_ge_u32 s2, s3
	s_cselect_b32 s1, s19, s1
	s_cselect_b32 s2, s10, s2
	s_add_i32 s10, s1, 1
	s_cmp_ge_u32 s2, s3
	s_cselect_b32 s60, s10, s1
	s_mul_hi_u32 s1, s6, s11
	s_mul_i32 s1, s1, s3
	s_sub_i32 s1, s6, s1
	s_sub_i32 s2, s1, s3
	s_cmp_ge_u32 s1, s3
	s_cselect_b32 s1, s2, s1
	s_sub_i32 s2, s1, s3
	s_cmp_ge_u32 s1, s3
	s_cselect_b32 s1, s2, s1
	s_mulk_i32 s1, 0x78
	s_mul_i32 s2, s60, s7
	s_mul_i32 s3, s1, s18
	s_add_i32 s19, s3, s2
	s_lshl_b64 s[6:7], s[8:9], 3
	s_add_u32 s8, s12, s6
	s_addc_u32 s9, s13, s7
	s_load_dwordx2 s[10:11], s[8:9], 0x0
	s_load_dwordx2 s[20:21], s[4:5], 0x58
	;; [unrolled: 1-line block ×3, first 2 shown]
	s_waitcnt lgkmcnt(0)
	s_mul_i32 s3, s11, s33
	s_mul_hi_u32 s8, s10, s33
	s_add_i32 s8, s8, s3
	s_mul_i32 s3, s10, s33
	s_add_u32 s22, s3, s19
	s_addc_u32 s23, s8, 0
	s_add_u32 s6, s14, s6
	s_addc_u32 s7, s15, s7
	s_load_dwordx4 s[8:11], s[14:15], 0x0
	s_load_dwordx2 s[12:13], s[6:7], 0x0
	s_add_i32 s3, s1, 0x78
	s_cmp_le_u32 s3, s0
	s_cselect_b64 s[6:7], -1, 0
	s_mov_b64 s[14:15], -1
	s_and_b64 vcc, exec, s[6:7]
	s_cbranch_vccz .LBB0_2
; %bb.1:
	v_mul_u32_u24_e32 v1, 0xf10, v0
	v_lshrrev_b32_e32 v11, 16, v1
	v_mul_lo_u16_e32 v1, 17, v11
	v_sub_u16_e32 v12, v0, v1
	v_mad_u64_u32 v[1:2], s[14:15], s16, v12, 0
	v_mul_lo_u32 v9, s18, v11
	v_mov_b32_e32 v10, 0
	v_mad_u64_u32 v[2:3], s[14:15], s17, v12, v[2:3]
	v_add_u16_e32 v3, 0x78, v0
	v_mul_u32_u24_e32 v4, 0xf10, v3
	v_lshrrev_b32_e32 v13, 16, v4
	s_lshl_b64 s[14:15], s[22:23], 4
	v_mul_lo_u16_e32 v4, 17, v13
	s_add_u32 s3, s20, s14
	v_sub_u16_e32 v14, v3, v4
	s_waitcnt lgkmcnt(0)
	s_addc_u32 s11, s21, s15
	v_mad_u64_u32 v[3:4], s[14:15], s16, v14, 0
	v_lshlrev_b64 v[1:2], 4, v[1:2]
	v_mov_b32_e32 v5, s11
	v_add_co_u32_e32 v6, vcc, s3, v1
	v_addc_co_u32_e32 v7, vcc, v5, v2, vcc
	v_mad_u64_u32 v[4:5], s[14:15], s17, v14, v[4:5]
	v_lshlrev_b64 v[1:2], 4, v[9:10]
	v_mul_lo_u32 v9, s18, v13
	v_add_co_u32_e32 v17, vcc, v6, v1
	v_addc_co_u32_e32 v18, vcc, v7, v2, vcc
	v_lshlrev_b64 v[1:2], 4, v[3:4]
	v_add_u16_e32 v4, 0xf0, v0
	v_mul_u32_u24_e32 v5, 0xf10, v4
	v_lshrrev_b32_e32 v15, 16, v5
	v_mul_lo_u16_e32 v5, 17, v15
	v_sub_u16_e32 v16, v4, v5
	v_mad_u64_u32 v[19:20], s[14:15], s16, v16, 0
	v_mov_b32_e32 v3, s11
	v_add_co_u32_e32 v4, vcc, s3, v1
	v_addc_co_u32_e32 v5, vcc, v3, v2, vcc
	v_lshlrev_b64 v[1:2], 4, v[9:10]
	v_mov_b32_e32 v3, v20
	v_mad_u64_u32 v[20:21], s[14:15], s17, v16, v[3:4]
	v_add_co_u32_e32 v21, vcc, v4, v1
	v_addc_co_u32_e32 v22, vcc, v5, v2, vcc
	global_load_dwordx4 v[5:8], v[17:18], off
	global_load_dwordx4 v[1:4], v[21:22], off
	v_add_u16_e32 v18, 0x168, v0
	v_mul_u32_u24_e32 v17, 0xf10, v18
	v_lshrrev_b32_e32 v17, 16, v17
	v_mul_lo_u16_e32 v21, 17, v17
	v_sub_u16_e32 v18, v18, v21
	v_mul_lo_u32 v9, s18, v15
	v_mad_u64_u32 v[21:22], s[14:15], s16, v18, 0
	v_lshlrev_b64 v[19:20], 4, v[19:20]
	v_mov_b32_e32 v23, s11
	v_add_co_u32_e32 v24, vcc, s3, v19
	v_addc_co_u32_e32 v25, vcc, v23, v20, vcc
	v_lshlrev_b64 v[19:20], 4, v[9:10]
	v_mov_b32_e32 v9, v22
	v_mad_u64_u32 v[22:23], s[14:15], s17, v18, v[9:10]
	v_add_co_u32_e32 v27, vcc, v24, v19
	v_addc_co_u32_e32 v28, vcc, v25, v20, vcc
	v_lshlrev_b64 v[19:20], 4, v[21:22]
	v_add_u16_e32 v22, 0x1e0, v0
	v_mul_u32_u24_e32 v23, 0xf10, v22
	v_lshrrev_b32_e32 v81, 16, v23
	v_mul_lo_u16_e32 v23, 17, v81
	v_sub_u16_e32 v82, v22, v23
	v_mul_lo_u32 v9, s18, v17
	v_mad_u64_u32 v[29:30], s[14:15], s16, v82, 0
	v_mov_b32_e32 v21, s11
	v_add_co_u32_e32 v22, vcc, s3, v19
	v_addc_co_u32_e32 v21, vcc, v21, v20, vcc
	v_lshlrev_b64 v[19:20], 4, v[9:10]
	v_mov_b32_e32 v9, v30
	v_mad_u64_u32 v[30:31], s[14:15], s17, v82, v[9:10]
	v_add_co_u32_e32 v31, vcc, v22, v19
	v_addc_co_u32_e32 v32, vcc, v21, v20, vcc
	global_load_dwordx4 v[19:22], v[27:28], off
	global_load_dwordx4 v[23:26], v[31:32], off
	v_lshlrev_b64 v[27:28], 4, v[29:30]
	v_add_u16_e32 v29, 0x258, v0
	v_mul_u32_u24_e32 v30, 0xf10, v29
	v_lshrrev_b32_e32 v83, 16, v30
	v_mul_lo_u16_e32 v30, 17, v83
	v_sub_u16_e32 v84, v29, v30
	v_mul_lo_u32 v9, s18, v81
	v_mad_u64_u32 v[29:30], s[14:15], s16, v84, 0
	v_mov_b32_e32 v31, s11
	v_add_co_u32_e32 v32, vcc, s3, v27
	v_addc_co_u32_e32 v33, vcc, v31, v28, vcc
	v_lshlrev_b64 v[27:28], 4, v[9:10]
	v_mov_b32_e32 v9, v30
	v_mad_u64_u32 v[30:31], s[14:15], s17, v84, v[9:10]
	v_add_co_u32_e32 v35, vcc, v32, v27
	v_addc_co_u32_e32 v36, vcc, v33, v28, vcc
	v_lshlrev_b64 v[27:28], 4, v[29:30]
	v_add_u16_e32 v30, 0x2d0, v0
	v_mul_u32_u24_e32 v31, 0xf10, v30
	v_lshrrev_b32_e32 v85, 16, v31
	v_mul_lo_u16_e32 v31, 17, v85
	v_sub_u16_e32 v86, v30, v31
	v_mul_lo_u32 v9, s18, v83
	v_mad_u64_u32 v[37:38], s[14:15], s16, v86, 0
	v_mov_b32_e32 v29, s11
	v_add_co_u32_e32 v30, vcc, s3, v27
	v_addc_co_u32_e32 v29, vcc, v29, v28, vcc
	v_lshlrev_b64 v[27:28], 4, v[9:10]
	v_mov_b32_e32 v9, v38
	v_mad_u64_u32 v[38:39], s[14:15], s17, v86, v[9:10]
	v_add_co_u32_e32 v39, vcc, v30, v27
	v_addc_co_u32_e32 v40, vcc, v29, v28, vcc
	global_load_dwordx4 v[27:30], v[35:36], off
	global_load_dwordx4 v[31:34], v[39:40], off
	v_lshlrev_b64 v[35:36], 4, v[37:38]
	v_add_u16_e32 v37, 0x348, v0
	v_mul_u32_u24_e32 v38, 0xf10, v37
	v_lshrrev_b32_e32 v87, 16, v38
	v_mul_lo_u16_e32 v38, 17, v87
	v_sub_u16_e32 v88, v37, v38
	v_mul_lo_u32 v9, s18, v85
	v_mad_u64_u32 v[37:38], s[14:15], s16, v88, 0
	;; [unrolled: 34-line block ×6, first 2 shown]
	v_mov_b32_e32 v71, s11
	v_add_co_u32_e32 v72, vcc, s3, v67
	v_addc_co_u32_e32 v73, vcc, v71, v68, vcc
	v_lshlrev_b64 v[67:68], 4, v[9:10]
	v_mov_b32_e32 v9, v70
	v_mad_u64_u32 v[70:71], s[14:15], s17, v104, v[9:10]
	v_add_co_u32_e32 v75, vcc, v72, v67
	s_movk_i32 s19, 0xf10
	v_addc_co_u32_e32 v76, vcc, v73, v68, vcc
	v_lshlrev_b64 v[67:68], 4, v[69:70]
	v_or_b32_e32 v70, 0x780, v0
	v_mul_u32_u24_sdwa v71, v70, s19 dst_sel:DWORD dst_unused:UNUSED_PAD src0_sel:WORD_0 src1_sel:DWORD
	v_lshrrev_b32_e32 v105, 16, v71
	v_mul_lo_u16_e32 v71, 17, v105
	v_sub_u16_e32 v106, v70, v71
	v_mul_lo_u32 v9, s18, v103
	v_mad_u64_u32 v[77:78], s[14:15], s16, v106, 0
	v_mov_b32_e32 v69, s11
	v_add_co_u32_e32 v70, vcc, s3, v67
	v_addc_co_u32_e32 v69, vcc, v69, v68, vcc
	v_lshlrev_b64 v[67:68], 4, v[9:10]
	v_mov_b32_e32 v9, v78
	v_mad_u64_u32 v[78:79], s[14:15], s17, v106, v[9:10]
	v_mul_lo_u32 v9, s18, v105
	v_add_co_u32_e32 v79, vcc, v70, v67
	v_addc_co_u32_e32 v80, vcc, v69, v68, vcc
	global_load_dwordx4 v[67:70], v[75:76], off
	global_load_dwordx4 v[71:74], v[79:80], off
	v_lshlrev_b64 v[75:76], 4, v[77:78]
	v_mov_b32_e32 v77, s11
	v_add_co_u32_e32 v75, vcc, s3, v75
	v_lshlrev_b64 v[9:10], 4, v[9:10]
	v_addc_co_u32_e32 v76, vcc, v77, v76, vcc
	v_add_co_u32_e32 v9, vcc, v75, v9
	v_addc_co_u32_e32 v10, vcc, v76, v10, vcc
	global_load_dwordx4 v[75:78], v[9:10], off
	v_mul_u32_u24_e32 v9, 0x120, v11
	v_lshlrev_b32_e32 v10, 4, v12
	v_add3_u32 v9, 0, v9, v10
	s_waitcnt vmcnt(16)
	ds_write_b128 v9, v[5:8]
	v_mul_u32_u24_e32 v5, 0x120, v13
	v_lshlrev_b32_e32 v6, 4, v14
	v_add3_u32 v5, 0, v5, v6
	s_waitcnt vmcnt(15)
	ds_write_b128 v5, v[1:4]
	;; [unrolled: 5-line block ×14, first 2 shown]
	v_mul_u32_u24_e32 v1, 0x120, v101
	v_lshlrev_b32_e32 v2, 4, v102
	v_add3_u32 v1, 0, v1, v2
	v_lshlrev_b32_e32 v2, 4, v104
	s_mov_b64 s[14:15], 0
	s_waitcnt vmcnt(2)
	ds_write_b128 v1, v[67:70]
	v_mul_u32_u24_e32 v1, 0x120, v103
	v_add3_u32 v1, 0, v1, v2
	s_waitcnt vmcnt(1)
	ds_write_b128 v1, v[71:74]
	v_mul_u32_u24_e32 v1, 0x120, v105
	v_lshlrev_b32_e32 v2, 4, v106
	v_add3_u32 v1, 0, v1, v2
	s_waitcnt vmcnt(0)
	ds_write_b128 v1, v[75:78]
.LBB0_2:
	s_load_dwordx2 s[4:5], s[4:5], 0x60
	s_andn2_b64 vcc, exec, s[14:15]
	s_cbranch_vccnz .LBB0_6
; %bb.3:
	s_lshl_b64 s[14:15], s[22:23], 4
	s_add_u32 s3, s20, s14
	s_addc_u32 s19, s21, s15
	s_mov_b64 s[14:15], 0
	s_waitcnt lgkmcnt(0)
	s_mov_b32 s11, 0xf0f1
	v_mov_b32_e32 v2, 0
	v_mov_b32_e32 v3, s19
	s_movk_i32 s19, 0x7f7
	v_mov_b32_e32 v4, v0
.LBB0_4:                                ; =>This Inner Loop Header: Depth=1
	v_mul_u32_u24_sdwa v1, v4, s11 dst_sel:DWORD dst_unused:UNUSED_PAD src0_sel:WORD_0 src1_sel:DWORD
	v_lshrrev_b32_e32 v11, 20, v1
	v_mul_lo_u16_e32 v5, 17, v11
	v_sub_u16_e32 v12, v4, v5
	v_mul_lo_u32 v1, v11, s18
	v_mad_u64_u32 v[5:6], s[20:21], s16, v12, 0
	v_add_u32_e32 v4, 0x78, v4
	v_lshlrev_b64 v[7:8], 4, v[1:2]
	v_mov_b32_e32 v1, v6
	v_mad_u64_u32 v[9:10], s[20:21], s17, v12, v[1:2]
	v_mov_b32_e32 v6, v9
	v_lshlrev_b64 v[5:6], 4, v[5:6]
	v_lshlrev_b32_e32 v9, 4, v12
	v_add_co_u32_e32 v1, vcc, s3, v5
	v_addc_co_u32_e32 v6, vcc, v3, v6, vcc
	v_add_co_u32_e32 v5, vcc, v1, v7
	v_addc_co_u32_e32 v6, vcc, v6, v8, vcc
	global_load_dwordx4 v[5:8], v[5:6], off
	v_mul_u32_u24_e32 v1, 0x120, v11
	v_cmp_lt_u32_e32 vcc, s19, v4
	v_add3_u32 v1, 0, v1, v9
	s_or_b64 s[14:15], vcc, s[14:15]
	s_waitcnt vmcnt(0)
	ds_write_b128 v1, v[5:8]
	s_andn2_b64 exec, exec, s[14:15]
	s_cbranch_execnz .LBB0_4
; %bb.5:
	s_or_b64 exec, exec, s[14:15]
.LBB0_6:
	v_add_u32_e32 v1, s1, v0
	s_mov_b32 s3, 0x88888889
	v_mul_hi_u32 v2, v1, s3
	s_movk_i32 s3, 0x78
	s_waitcnt lgkmcnt(0)
	s_movk_i32 s11, 0x120
	v_lshrrev_b32_e32 v2, 6, v2
	v_mul_lo_u32 v2, v2, s3
	s_barrier
	s_mov_b32 s34, 0x5d8e7cdc
	v_sub_u32_e32 v1, v1, v2
	v_mad_u32_u24 v121, v1, s11, 0
	ds_read_b128 v[1:4], v121
	ds_read_b128 v[5:8], v121 offset:16
	ds_read_b128 v[9:12], v121 offset:32
	;; [unrolled: 1-line block ×3, first 2 shown]
	s_mov_b32 s35, 0xbfd71e95
	s_mov_b32 s26, 0x370991
	s_waitcnt lgkmcnt(2)
	v_add_f64 v[17:18], v[1:2], v[5:6]
	v_add_f64 v[19:20], v[3:4], v[7:8]
	s_mov_b32 s44, 0x2a9d6da3
	s_mov_b32 s48, 0x7c9e640b
	;; [unrolled: 1-line block ×6, first 2 shown]
	s_waitcnt lgkmcnt(1)
	v_add_f64 v[17:18], v[17:18], v[9:10]
	v_add_f64 v[19:20], v[19:20], v[11:12]
	s_mov_b32 s38, 0xacd6c6b4
	s_mov_b32 s27, 0x3fedd6d0
	s_mov_b32 s45, 0xbfe58eea
	s_mov_b32 s49, 0xbfeca52d
	s_mov_b32 s41, 0xbfefdd0d
	ds_read_b128 v[21:24], v121 offset:80
	s_waitcnt lgkmcnt(1)
	v_add_f64 v[25:26], v[17:18], v[13:14]
	v_add_f64 v[27:28], v[19:20], v[15:16]
	ds_read_b128 v[17:20], v121 offset:64
	s_mov_b32 s23, 0xbfeec746
	s_mov_b32 s29, 0xbfe9895b
	;; [unrolled: 1-line block ×5, first 2 shown]
	s_waitcnt lgkmcnt(0)
	v_add_f64 v[25:26], v[25:26], v[17:18]
	v_add_f64 v[27:28], v[27:28], v[19:20]
	s_mov_b32 s16, 0x2b2883cd
	s_mov_b32 s14, 0x3259b75e
	;; [unrolled: 1-line block ×5, first 2 shown]
	ds_read_b128 v[29:32], v121 offset:112
	v_add_f64 v[33:34], v[25:26], v[21:22]
	v_add_f64 v[35:36], v[27:28], v[23:24]
	ds_read_b128 v[25:28], v121 offset:96
	s_mov_b32 s42, 0x7faef3
	s_mov_b32 s21, 0x3fe7a5f6
	;; [unrolled: 1-line block ×5, first 2 shown]
	s_waitcnt lgkmcnt(0)
	v_add_f64 v[37:38], v[33:34], v[25:26]
	v_add_f64 v[39:40], v[35:36], v[27:28]
	ds_read_b128 v[33:36], v121 offset:128
	ds_read_b128 v[51:54], v121 offset:144
	;; [unrolled: 1-line block ×9, first 2 shown]
	s_waitcnt lgkmcnt(4)
	v_add_f64 v[69:70], v[21:22], -v[89:90]
	v_add_f64 v[45:46], v[33:34], -v[51:52]
	;; [unrolled: 1-line block ×4, first 2 shown]
	v_add_f64 v[37:38], v[37:38], v[29:30]
	v_add_f64 v[41:42], v[39:40], v[31:32]
	;; [unrolled: 1-line block ×3, first 2 shown]
	v_add_f64 v[47:48], v[35:36], -v[53:54]
	v_add_f64 v[43:44], v[31:32], v[67:68]
	v_add_f64 v[63:64], v[27:28], -v[77:78]
	s_waitcnt lgkmcnt(3)
	v_add_f64 v[73:74], v[17:18], -v[93:94]
	s_waitcnt lgkmcnt(2)
	v_add_f64 v[85:86], v[13:14], -v[97:98]
	v_add_f64 v[55:56], v[37:38], v[33:34]
	v_add_f64 v[57:58], v[41:42], v[35:36]
	;; [unrolled: 1-line block ×5, first 2 shown]
	v_add_f64 v[71:72], v[23:24], -v[91:92]
	v_add_f64 v[87:88], v[15:16], -v[99:100]
	s_waitcnt lgkmcnt(1)
	v_add_f64 v[81:82], v[11:12], v[103:104]
	v_add_f64 v[29:30], v[55:56], v[51:52]
	;; [unrolled: 1-line block ×4, first 2 shown]
	v_add_f64 v[55:56], v[31:32], -v[67:68]
	v_add_f64 v[53:54], v[27:28], v[77:78]
	v_add_f64 v[57:58], v[21:22], v[89:90]
	;; [unrolled: 1-line block ×3, first 2 shown]
	v_add_f64 v[79:80], v[19:20], -v[95:96]
	v_add_f64 v[25:26], v[29:30], v[65:66]
	v_add_f64 v[27:28], v[33:34], v[67:68]
	;; [unrolled: 1-line block ×4, first 2 shown]
	s_mov_b32 s25, 0xbfe348c8
	s_mov_b32 s37, 0xbfeb34fa
	;; [unrolled: 1-line block ×3, first 2 shown]
	v_mul_f64 v[154:155], v[87:88], s[48:49]
	v_add_f64 v[17:18], v[25:26], v[75:76]
	v_add_f64 v[21:22], v[27:28], v[77:78]
	;; [unrolled: 1-line block ×4, first 2 shown]
	v_mul_f64 v[156:157], v[85:86], s[48:49]
	v_mul_f64 v[160:161], v[73:74], s[40:41]
	;; [unrolled: 1-line block ×3, first 2 shown]
	s_mov_b32 s57, 0x3fe0d888
	v_add_f64 v[13:14], v[17:18], v[89:90]
	v_add_f64 v[15:16], v[21:22], v[91:92]
	s_waitcnt lgkmcnt(0)
	v_add_f64 v[17:18], v[7:8], -v[107:108]
	v_add_f64 v[91:92], v[11:12], -v[103:104]
	v_add_f64 v[11:12], v[7:8], v[107:108]
	v_add_f64 v[89:90], v[9:10], -v[101:102]
	v_add_f64 v[9:10], v[5:6], v[105:106]
	s_mov_b32 s56, s30
	v_add_f64 v[7:8], v[13:14], v[93:94]
	v_add_f64 v[13:14], v[15:16], v[95:96]
	v_add_f64 v[15:16], v[5:6], -v[105:106]
	v_mul_f64 v[5:6], v[17:18], s[34:35]
	v_mul_f64 v[19:20], v[17:18], s[44:45]
	;; [unrolled: 1-line block ×5, first 2 shown]
	v_add_f64 v[7:8], v[7:8], v[97:98]
	v_add_f64 v[13:14], v[13:14], v[99:100]
	v_mul_f64 v[27:28], v[17:18], s[28:29]
	v_mul_f64 v[29:30], v[17:18], s[30:31]
	v_fma_f64 v[31:32], v[9:10], s[26:27], -v[5:6]
	v_fma_f64 v[33:34], v[9:10], s[26:27], v[5:6]
	v_mul_f64 v[17:18], v[17:18], s[38:39]
	v_fma_f64 v[35:36], v[9:10], s[20:21], -v[19:20]
	v_add_f64 v[5:6], v[7:8], v[101:102]
	v_mul_f64 v[101:102], v[15:16], s[34:35]
	v_fma_f64 v[19:20], v[9:10], s[20:21], v[19:20]
	v_add_f64 v[7:8], v[13:14], v[103:104]
	v_fma_f64 v[13:14], v[9:10], s[16:17], -v[21:22]
	v_fma_f64 v[21:22], v[9:10], s[16:17], v[21:22]
	v_fma_f64 v[93:94], v[9:10], s[14:15], -v[23:24]
	v_fma_f64 v[23:24], v[9:10], s[14:15], v[23:24]
	;; [unrolled: 2-line block ×3, first 2 shown]
	v_add_f64 v[5:6], v[5:6], v[105:106]
	v_fma_f64 v[97:98], v[9:10], s[24:25], -v[27:28]
	v_fma_f64 v[27:28], v[9:10], s[24:25], v[27:28]
	v_fma_f64 v[99:100], v[9:10], s[36:37], -v[29:30]
	v_fma_f64 v[103:104], v[9:10], s[36:37], v[29:30]
	v_mul_f64 v[29:30], v[15:16], s[44:45]
	v_mul_f64 v[105:106], v[15:16], s[48:49]
	v_fma_f64 v[122:123], v[9:10], s[42:43], -v[17:18]
	v_fma_f64 v[9:10], v[9:10], s[42:43], v[17:18]
	v_fma_f64 v[17:18], v[11:12], s[26:27], v[101:102]
	v_fma_f64 v[101:102], v[11:12], s[26:27], -v[101:102]
	v_mul_f64 v[109:110], v[15:16], s[40:41]
	v_mul_f64 v[111:112], v[15:16], s[22:23]
	;; [unrolled: 1-line block ×7, first 2 shown]
	v_add_f64 v[7:8], v[7:8], v[107:108]
	v_fma_f64 v[107:108], v[11:12], s[20:21], v[29:30]
	v_fma_f64 v[29:30], v[11:12], s[20:21], -v[29:30]
	v_fma_f64 v[113:114], v[11:12], s[16:17], v[105:106]
	v_fma_f64 v[105:106], v[11:12], s[16:17], -v[105:106]
	;; [unrolled: 2-line block ×7, first 2 shown]
	v_add_f64 v[15:16], v[1:2], v[31:32]
	v_add_f64 v[17:18], v[3:4], v[17:18]
	;; [unrolled: 1-line block ×4, first 2 shown]
	v_fma_f64 v[93:94], v[83:84], s[20:21], -v[142:143]
	v_fma_f64 v[101:102], v[81:82], s[20:21], v[144:145]
	v_add_f64 v[140:141], v[3:4], v[29:30]
	v_add_f64 v[31:32], v[1:2], v[95:96]
	;; [unrolled: 1-line block ×3, first 2 shown]
	v_fma_f64 v[95:96], v[75:76], s[16:17], v[156:157]
	v_mul_f64 v[124:125], v[79:80], s[40:41]
	v_add_f64 v[146:147], v[3:4], v[113:114]
	v_add_f64 v[15:16], v[93:94], v[15:16]
	;; [unrolled: 1-line block ×3, first 2 shown]
	v_fma_f64 v[93:94], v[77:78], s[16:17], -v[154:155]
	v_add_f64 v[152:153], v[3:4], v[119:120]
	v_add_f64 v[119:120], v[1:2], v[25:26]
	;; [unrolled: 1-line block ×3, first 2 shown]
	v_fma_f64 v[25:26], v[67:68], s[14:15], -v[124:125]
	v_mul_f64 v[126:127], v[71:72], s[22:23]
	v_add_f64 v[148:149], v[3:4], v[105:106]
	v_add_f64 v[17:18], v[95:96], v[17:18]
	;; [unrolled: 1-line block ×3, first 2 shown]
	v_fma_f64 v[93:94], v[65:66], s[14:15], v[160:161]
	v_add_f64 v[158:159], v[3:4], v[109:110]
	v_add_f64 v[117:118], v[3:4], v[111:112]
	;; [unrolled: 1-line block ×5, first 2 shown]
	v_fma_f64 v[27:28], v[59:60], s[18:19], v[162:163]
	v_add_f64 v[15:16], v[25:26], v[15:16]
	v_add_f64 v[17:18], v[93:94], v[17:18]
	v_fma_f64 v[25:26], v[57:58], s[18:19], -v[126:127]
	v_mul_f64 v[128:129], v[63:64], s[28:29]
	v_mul_f64 v[130:131], v[61:62], s[28:29]
	v_add_f64 v[138:139], v[3:4], v[107:108]
	v_add_f64 v[107:108], v[1:2], v[99:100]
	;; [unrolled: 1-line block ×6, first 2 shown]
	v_fma_f64 v[25:26], v[51:52], s[24:25], -v[128:129]
	v_fma_f64 v[27:28], v[53:54], s[24:25], v[130:131]
	v_mul_f64 v[122:123], v[55:56], s[30:31]
	v_mul_f64 v[132:133], v[49:50], s[30:31]
	v_add_f64 v[33:34], v[1:2], v[33:34]
	v_add_f64 v[35:36], v[1:2], v[35:36]
	;; [unrolled: 1-line block ×11, first 2 shown]
	v_fma_f64 v[1:2], v[83:84], s[20:21], v[142:143]
	v_fma_f64 v[3:4], v[81:82], s[20:21], -v[144:145]
	v_add_f64 v[9:10], v[25:26], v[15:16]
	v_add_f64 v[11:12], v[27:28], v[17:18]
	v_fma_f64 v[15:16], v[41:42], s[36:37], -v[122:123]
	v_fma_f64 v[17:18], v[43:44], s[36:37], v[132:133]
	v_mul_f64 v[25:26], v[47:48], s[38:39]
	v_mul_f64 v[27:28], v[45:46], s[38:39]
	v_add_f64 v[1:2], v[1:2], v[33:34]
	v_add_f64 v[3:4], v[3:4], v[136:137]
	v_fma_f64 v[33:34], v[77:78], s[16:17], v[154:155]
	v_fma_f64 v[134:135], v[75:76], s[16:17], -v[156:157]
	v_add_f64 v[9:10], v[15:16], v[9:10]
	v_add_f64 v[11:12], v[17:18], v[11:12]
	v_fma_f64 v[15:16], v[39:40], s[42:43], -v[25:26]
	v_fma_f64 v[17:18], v[37:38], s[42:43], v[27:28]
	v_mul_f64 v[136:137], v[91:92], s[40:41]
	v_mul_f64 v[142:143], v[89:90], s[40:41]
	v_add_f64 v[33:34], v[33:34], v[1:2]
	v_add_f64 v[134:135], v[134:135], v[3:4]
	;; [unrolled: 10-line block ×4, first 2 shown]
	v_fma_f64 v[126:127], v[51:52], s[24:25], v[128:129]
	v_fma_f64 v[128:129], v[53:54], s[24:25], -v[130:131]
	v_add_f64 v[9:10], v[35:36], v[9:10]
	v_add_f64 v[11:12], v[138:139], v[11:12]
	v_fma_f64 v[35:36], v[67:68], s[42:43], -v[144:145]
	v_fma_f64 v[130:131], v[65:66], s[42:43], v[154:155]
	v_mul_f64 v[134:135], v[71:72], s[56:57]
	v_mul_f64 v[138:139], v[69:70], s[56:57]
	s_mov_b32 s55, 0x3feec746
	s_mov_b32 s54, s22
	v_add_f64 v[33:34], v[126:127], v[33:34]
	v_add_f64 v[124:125], v[128:129], v[124:125]
	v_fma_f64 v[122:123], v[41:42], s[36:37], v[122:123]
	v_fma_f64 v[126:127], v[43:44], s[36:37], -v[132:133]
	v_add_f64 v[9:10], v[35:36], v[9:10]
	v_add_f64 v[11:12], v[130:131], v[11:12]
	v_fma_f64 v[35:36], v[57:58], s[36:37], -v[134:135]
	v_fma_f64 v[128:129], v[59:60], s[36:37], v[138:139]
	v_mul_f64 v[130:131], v[63:64], s[54:55]
	s_mov_b32 s47, 0x3feca52d
	v_add_f64 v[33:34], v[122:123], v[33:34]
	v_add_f64 v[122:123], v[126:127], v[124:125]
	v_mul_f64 v[124:125], v[61:62], s[54:55]
	v_fma_f64 v[126:127], v[83:84], s[14:15], v[136:137]
	v_add_f64 v[9:10], v[35:36], v[9:10]
	v_add_f64 v[11:12], v[128:129], v[11:12]
	v_fma_f64 v[35:36], v[51:52], s[18:19], -v[130:131]
	v_fma_f64 v[128:129], v[81:82], s[14:15], -v[142:143]
	s_mov_b32 s46, s48
	v_fma_f64 v[27:28], v[37:38], s[42:43], -v[27:28]
	v_fma_f64 v[132:133], v[53:54], s[18:19], v[124:125]
	v_mul_f64 v[136:137], v[55:56], s[46:47]
	v_mul_f64 v[142:143], v[49:50], s[46:47]
	v_fma_f64 v[15:16], v[77:78], s[24:25], v[15:16]
	v_add_f64 v[35:36], v[35:36], v[9:10]
	v_add_f64 v[9:10], v[126:127], v[19:20]
	;; [unrolled: 1-line block ×3, first 2 shown]
	v_fma_f64 v[17:18], v[75:76], s[24:25], -v[17:18]
	v_fma_f64 v[25:26], v[39:40], s[42:43], v[25:26]
	v_add_f64 v[126:127], v[132:133], v[11:12]
	v_fma_f64 v[128:129], v[41:42], s[16:17], -v[136:137]
	v_fma_f64 v[132:133], v[43:44], s[16:17], v[142:143]
	v_add_f64 v[11:12], v[27:28], v[122:123]
	v_add_f64 v[15:16], v[15:16], v[9:10]
	v_mul_f64 v[27:28], v[91:92], s[28:29]
	v_add_f64 v[17:18], v[17:18], v[19:20]
	v_fma_f64 v[19:20], v[67:68], s[42:43], v[144:145]
	v_fma_f64 v[144:145], v[65:66], s[42:43], -v[154:155]
	s_mov_b32 s53, 0x3fc7851a
	s_mov_b32 s52, s38
	v_add_f64 v[9:10], v[25:26], v[33:34]
	v_add_f64 v[25:26], v[128:129], v[35:36]
	;; [unrolled: 1-line block ×3, first 2 shown]
	v_fma_f64 v[122:123], v[59:60], s[36:37], -v[138:139]
	v_add_f64 v[15:16], v[19:20], v[15:16]
	v_add_f64 v[17:18], v[144:145], v[17:18]
	v_fma_f64 v[19:20], v[57:58], s[36:37], v[134:135]
	v_fma_f64 v[128:129], v[83:84], s[24:25], -v[27:28]
	v_mul_f64 v[132:133], v[89:90], s[28:29]
	v_mul_f64 v[134:135], v[87:88], s[52:53]
	s_mov_b32 s51, 0x3fd71e95
	s_mov_b32 s50, s34
	v_mul_f64 v[140:141], v[47:48], s[50:51]
	v_mul_f64 v[126:127], v[45:46], s[50:51]
	v_add_f64 v[15:16], v[19:20], v[15:16]
	v_add_f64 v[17:18], v[122:123], v[17:18]
	v_fma_f64 v[19:20], v[51:52], s[18:19], v[130:131]
	v_fma_f64 v[122:123], v[53:54], s[18:19], -v[124:125]
	v_add_f64 v[13:14], v[128:129], v[13:14]
	v_fma_f64 v[128:129], v[81:82], s[24:25], v[132:133]
	v_fma_f64 v[130:131], v[77:78], s[42:43], -v[134:135]
	v_mul_f64 v[138:139], v[85:86], s[52:53]
	v_mul_f64 v[144:145], v[79:80], s[54:55]
	s_mov_b32 s53, 0x3fe58eea
	s_mov_b32 s52, s44
	v_fma_f64 v[35:36], v[39:40], s[26:27], -v[140:141]
	v_fma_f64 v[124:125], v[37:38], s[26:27], v[126:127]
	v_add_f64 v[122:123], v[122:123], v[17:18]
	v_fma_f64 v[142:143], v[43:44], s[16:17], -v[142:143]
	v_add_f64 v[128:129], v[128:129], v[146:147]
	v_add_f64 v[13:14], v[130:131], v[13:14]
	v_fma_f64 v[130:131], v[75:76], s[42:43], v[138:139]
	v_fma_f64 v[146:147], v[67:68], s[18:19], -v[144:145]
	v_mul_f64 v[154:155], v[73:74], s[54:55]
	v_mul_f64 v[156:157], v[71:72], s[52:53]
	v_add_f64 v[15:16], v[19:20], v[15:16]
	v_fma_f64 v[136:137], v[41:42], s[16:17], v[136:137]
	v_add_f64 v[17:18], v[35:36], v[25:26]
	v_add_f64 v[19:20], v[124:125], v[33:34]
	;; [unrolled: 1-line block ×5, first 2 shown]
	v_fma_f64 v[35:36], v[65:66], s[18:19], v[154:155]
	v_fma_f64 v[122:123], v[57:58], s[20:21], -v[156:157]
	v_mul_f64 v[128:129], v[63:64], s[34:35]
	v_fma_f64 v[27:28], v[83:84], s[24:25], v[27:28]
	v_fma_f64 v[132:133], v[81:82], s[24:25], -v[132:133]
	v_add_f64 v[15:16], v[136:137], v[15:16]
	v_mul_f64 v[124:125], v[69:70], s[52:53]
	v_fma_f64 v[130:131], v[39:40], s[26:27], v[140:141]
	v_fma_f64 v[126:127], v[37:38], s[26:27], -v[126:127]
	v_add_f64 v[33:34], v[35:36], v[33:34]
	v_add_f64 v[35:36], v[122:123], v[13:14]
	v_fma_f64 v[136:137], v[51:52], s[26:27], -v[128:129]
	v_mul_f64 v[142:143], v[55:56], s[40:41]
	v_add_f64 v[21:22], v[27:28], v[21:22]
	v_add_f64 v[27:28], v[132:133], v[148:149]
	v_fma_f64 v[132:133], v[77:78], s[42:43], v[134:135]
	v_fma_f64 v[134:135], v[75:76], s[42:43], -v[138:139]
	v_fma_f64 v[122:123], v[59:60], s[20:21], v[124:125]
	v_mul_f64 v[140:141], v[61:62], s[34:35]
	v_add_f64 v[13:14], v[130:131], v[15:16]
	v_add_f64 v[35:36], v[136:137], v[35:36]
	v_fma_f64 v[136:137], v[41:42], s[14:15], -v[142:143]
	v_add_f64 v[15:16], v[126:127], v[25:26]
	v_add_f64 v[21:22], v[132:133], v[21:22]
	;; [unrolled: 1-line block ×3, first 2 shown]
	v_fma_f64 v[132:133], v[67:68], s[18:19], v[144:145]
	v_fma_f64 v[134:135], v[65:66], s[18:19], -v[154:155]
	v_mul_f64 v[126:127], v[91:92], s[38:39]
	v_add_f64 v[33:34], v[122:123], v[33:34]
	v_fma_f64 v[122:123], v[53:54], s[26:27], v[140:141]
	v_mul_f64 v[130:131], v[49:50], s[40:41]
	v_add_f64 v[35:36], v[136:137], v[35:36]
	v_fma_f64 v[124:125], v[59:60], s[20:21], -v[124:125]
	v_add_f64 v[21:22], v[132:133], v[21:22]
	v_add_f64 v[27:28], v[134:135], v[27:28]
	v_fma_f64 v[132:133], v[57:58], s[20:21], v[156:157]
	v_fma_f64 v[136:137], v[83:84], s[42:43], -v[126:127]
	v_mul_f64 v[138:139], v[89:90], s[38:39]
	v_mul_f64 v[144:145], v[87:88], s[54:55]
	v_add_f64 v[25:26], v[122:123], v[33:34]
	v_fma_f64 v[33:34], v[43:44], s[14:15], v[130:131]
	v_mul_f64 v[122:123], v[47:48], s[30:31]
	v_mul_f64 v[134:135], v[45:46], s[30:31]
	v_add_f64 v[21:22], v[132:133], v[21:22]
	v_add_f64 v[27:28], v[124:125], v[27:28]
	v_fma_f64 v[124:125], v[51:52], s[26:27], v[128:129]
	v_fma_f64 v[128:129], v[53:54], s[26:27], -v[140:141]
	v_add_f64 v[136:137], v[136:137], v[150:151]
	v_fma_f64 v[140:141], v[81:82], s[42:43], v[138:139]
	v_fma_f64 v[146:147], v[77:78], s[18:19], -v[144:145]
	v_mul_f64 v[148:149], v[85:86], s[54:55]
	v_mul_f64 v[150:151], v[79:80], s[50:51]
	v_add_f64 v[33:34], v[33:34], v[25:26]
	v_fma_f64 v[25:26], v[39:40], s[36:37], -v[122:123]
	v_fma_f64 v[132:133], v[37:38], s[36:37], v[134:135]
	v_add_f64 v[21:22], v[124:125], v[21:22]
	v_add_f64 v[124:125], v[128:129], v[27:28]
	v_fma_f64 v[128:129], v[41:42], s[14:15], v[142:143]
	v_fma_f64 v[130:131], v[43:44], s[14:15], -v[130:131]
	v_add_f64 v[140:141], v[140:141], v[152:153]
	v_add_f64 v[136:137], v[146:147], v[136:137]
	v_fma_f64 v[142:143], v[75:76], s[18:19], v[148:149]
	v_fma_f64 v[146:147], v[67:68], s[26:27], -v[150:151]
	v_mul_f64 v[152:153], v[73:74], s[50:51]
	v_mul_f64 v[154:155], v[71:72], s[48:49]
	v_add_f64 v[25:26], v[25:26], v[35:36]
	v_add_f64 v[27:28], v[132:133], v[33:34]
	;; [unrolled: 1-line block ×6, first 2 shown]
	v_fma_f64 v[128:129], v[65:66], s[26:27], v[152:153]
	v_fma_f64 v[130:131], v[57:58], s[16:17], -v[154:155]
	v_fma_f64 v[126:127], v[83:84], s[42:43], v[126:127]
	v_fma_f64 v[132:133], v[81:82], s[42:43], -v[138:139]
	v_mul_f64 v[136:137], v[69:70], s[48:49]
	v_mul_f64 v[138:139], v[63:64], s[30:31]
	s_mov_b32 s59, 0x3fe9895b
	s_mov_b32 s58, s28
	v_add_f64 v[35:36], v[128:129], v[35:36]
	v_add_f64 v[124:125], v[130:131], v[124:125]
	;; [unrolled: 1-line block ×4, first 2 shown]
	v_fma_f64 v[128:129], v[77:78], s[18:19], v[144:145]
	v_fma_f64 v[130:131], v[75:76], s[18:19], -v[148:149]
	v_fma_f64 v[122:123], v[39:40], s[36:37], v[122:123]
	v_fma_f64 v[134:135], v[37:38], s[36:37], -v[134:135]
	;; [unrolled: 2-line block ×3, first 2 shown]
	v_mul_f64 v[142:143], v[61:62], s[30:31]
	v_mul_f64 v[144:145], v[55:56], s[58:59]
	v_add_f64 v[23:24], v[128:129], v[23:24]
	v_add_f64 v[126:127], v[130:131], v[126:127]
	v_fma_f64 v[128:129], v[67:68], s[26:27], v[150:151]
	v_fma_f64 v[130:131], v[65:66], s[26:27], -v[152:153]
	v_add_f64 v[21:22], v[122:123], v[21:22]
	v_add_f64 v[35:36], v[132:133], v[35:36]
	;; [unrolled: 1-line block ×3, first 2 shown]
	v_fma_f64 v[124:125], v[53:54], s[36:37], v[142:143]
	v_mul_f64 v[132:133], v[49:50], s[58:59]
	v_fma_f64 v[140:141], v[41:42], s[24:25], -v[144:145]
	v_add_f64 v[128:129], v[128:129], v[23:24]
	v_add_f64 v[126:127], v[130:131], v[126:127]
	v_fma_f64 v[130:131], v[57:58], s[16:17], v[154:155]
	v_fma_f64 v[136:137], v[59:60], s[16:17], -v[136:137]
	v_add_f64 v[23:24], v[134:135], v[33:34]
	v_mul_f64 v[134:135], v[91:92], s[56:57]
	v_add_f64 v[33:34], v[124:125], v[35:36]
	v_fma_f64 v[35:36], v[43:44], s[24:25], v[132:133]
	v_mul_f64 v[124:125], v[47:48], s[52:53]
	v_add_f64 v[122:123], v[140:141], v[122:123]
	v_add_f64 v[128:129], v[130:131], v[128:129]
	v_fma_f64 v[130:131], v[51:52], s[36:37], v[138:139]
	v_add_f64 v[126:127], v[136:137], v[126:127]
	v_fma_f64 v[136:137], v[53:54], s[36:37], -v[142:143]
	v_fma_f64 v[140:141], v[83:84], s[36:37], -v[134:135]
	v_mul_f64 v[142:143], v[89:90], s[56:57]
	v_mul_f64 v[146:147], v[87:88], s[52:53]
	v_add_f64 v[35:36], v[35:36], v[33:34]
	v_fma_f64 v[33:34], v[39:40], s[20:21], -v[124:125]
	v_add_f64 v[128:129], v[130:131], v[128:129]
	v_fma_f64 v[130:131], v[41:42], s[24:25], v[144:145]
	v_mul_f64 v[138:139], v[45:46], s[52:53]
	v_add_f64 v[126:127], v[136:137], v[126:127]
	v_fma_f64 v[132:133], v[43:44], s[24:25], -v[132:133]
	v_add_f64 v[31:32], v[140:141], v[31:32]
	v_fma_f64 v[140:141], v[81:82], s[36:37], v[142:143]
	v_fma_f64 v[144:145], v[77:78], s[20:21], -v[146:147]
	v_mul_f64 v[148:149], v[85:86], s[52:53]
	v_mul_f64 v[150:151], v[79:80], s[48:49]
	v_add_f64 v[128:129], v[130:131], v[128:129]
	v_fma_f64 v[124:125], v[39:40], s[20:21], v[124:125]
	v_fma_f64 v[136:137], v[37:38], s[20:21], v[138:139]
	v_add_f64 v[126:127], v[132:133], v[126:127]
	v_fma_f64 v[130:131], v[37:38], s[20:21], -v[138:139]
	v_add_f64 v[132:133], v[140:141], v[29:30]
	v_add_f64 v[138:139], v[144:145], v[31:32]
	v_fma_f64 v[140:141], v[75:76], s[20:21], v[148:149]
	v_fma_f64 v[144:145], v[67:68], s[16:17], -v[150:151]
	v_add_f64 v[33:34], v[33:34], v[122:123]
	v_mul_f64 v[122:123], v[73:74], s[48:49]
	v_mul_f64 v[152:153], v[71:72], s[38:39]
	v_add_f64 v[29:30], v[124:125], v[128:129]
	v_fma_f64 v[128:129], v[83:84], s[36:37], v[134:135]
	v_add_f64 v[35:36], v[136:137], v[35:36]
	v_add_f64 v[31:32], v[130:131], v[126:127]
	;; [unrolled: 1-line block ×4, first 2 shown]
	v_fma_f64 v[130:131], v[65:66], s[16:17], v[122:123]
	v_fma_f64 v[132:133], v[57:58], s[42:43], -v[152:153]
	v_mul_f64 v[134:135], v[69:70], s[38:39]
	v_fma_f64 v[136:137], v[81:82], s[36:37], -v[142:143]
	v_add_f64 v[119:120], v[128:129], v[119:120]
	v_fma_f64 v[128:129], v[77:78], s[20:21], v[146:147]
	s_mov_b32 s49, 0x3fefdd0d
	s_mov_b32 s48, s40
	v_mul_f64 v[138:139], v[63:64], s[48:49]
	v_add_f64 v[124:125], v[130:131], v[124:125]
	v_fma_f64 v[130:131], v[59:60], s[42:43], v[134:135]
	v_mul_f64 v[140:141], v[61:62], s[48:49]
	v_add_f64 v[126:127], v[132:133], v[126:127]
	v_add_f64 v[117:118], v[136:137], v[117:118]
	v_fma_f64 v[132:133], v[75:76], s[20:21], -v[148:149]
	v_add_f64 v[119:120], v[128:129], v[119:120]
	v_fma_f64 v[128:129], v[67:68], s[16:17], v[150:151]
	v_fma_f64 v[136:137], v[51:52], s[14:15], -v[138:139]
	v_add_f64 v[124:125], v[130:131], v[124:125]
	v_fma_f64 v[130:131], v[53:54], s[14:15], v[140:141]
	v_mul_f64 v[142:143], v[55:56], s[34:35]
	v_mul_f64 v[144:145], v[49:50], s[34:35]
	v_add_f64 v[117:118], v[132:133], v[117:118]
	v_fma_f64 v[122:123], v[65:66], s[16:17], -v[122:123]
	v_add_f64 v[119:120], v[128:129], v[119:120]
	v_fma_f64 v[128:129], v[57:58], s[42:43], v[152:153]
	v_add_f64 v[126:127], v[136:137], v[126:127]
	v_add_f64 v[124:125], v[130:131], v[124:125]
	v_fma_f64 v[130:131], v[41:42], s[26:27], -v[142:143]
	v_fma_f64 v[132:133], v[43:44], s[26:27], v[144:145]
	v_mul_f64 v[136:137], v[47:48], s[28:29]
	v_add_f64 v[117:118], v[122:123], v[117:118]
	v_fma_f64 v[122:123], v[59:60], s[42:43], -v[134:135]
	v_mul_f64 v[134:135], v[45:46], s[28:29]
	v_add_f64 v[119:120], v[128:129], v[119:120]
	v_fma_f64 v[128:129], v[51:52], s[14:15], v[138:139]
	v_add_f64 v[126:127], v[130:131], v[126:127]
	v_add_f64 v[124:125], v[132:133], v[124:125]
	v_fma_f64 v[130:131], v[39:40], s[24:25], -v[136:137]
	v_mul_f64 v[132:133], v[91:92], s[54:55]
	v_add_f64 v[122:123], v[122:123], v[117:118]
	v_fma_f64 v[138:139], v[53:54], s[14:15], -v[140:141]
	v_fma_f64 v[140:141], v[37:38], s[24:25], v[134:135]
	v_add_f64 v[128:129], v[128:129], v[119:120]
	v_fma_f64 v[142:143], v[41:42], s[26:27], v[142:143]
	v_mul_f64 v[146:147], v[89:90], s[54:55]
	v_add_f64 v[117:118], v[130:131], v[126:127]
	v_fma_f64 v[126:127], v[83:84], s[18:19], -v[132:133]
	v_mul_f64 v[130:131], v[87:88], s[34:35]
	v_add_f64 v[122:123], v[138:139], v[122:123]
	v_fma_f64 v[138:139], v[43:44], s[26:27], -v[144:145]
	v_add_f64 v[119:120], v[140:141], v[124:125]
	v_add_f64 v[124:125], v[142:143], v[128:129]
	v_fma_f64 v[128:129], v[81:82], s[18:19], v[146:147]
	v_mul_f64 v[140:141], v[85:86], s[34:35]
	v_add_f64 v[115:116], v[126:127], v[115:116]
	v_fma_f64 v[126:127], v[77:78], s[26:27], -v[130:131]
	v_mul_f64 v[142:143], v[79:80], s[30:31]
	v_add_f64 v[122:123], v[138:139], v[122:123]
	v_fma_f64 v[136:137], v[39:40], s[24:25], v[136:137]
	v_fma_f64 v[134:135], v[37:38], s[24:25], -v[134:135]
	v_add_f64 v[128:129], v[128:129], v[113:114]
	v_fma_f64 v[138:139], v[75:76], s[26:27], v[140:141]
	v_mul_f64 v[144:145], v[73:74], s[30:31]
	v_add_f64 v[126:127], v[126:127], v[115:116]
	v_fma_f64 v[148:149], v[67:68], s[36:37], -v[142:143]
	v_mul_f64 v[150:151], v[71:72], s[48:49]
	v_add_f64 v[113:114], v[136:137], v[124:125]
	v_add_f64 v[115:116], v[134:135], v[122:123]
	v_fma_f64 v[122:123], v[83:84], s[18:19], v[132:133]
	v_add_f64 v[124:125], v[138:139], v[128:129]
	v_fma_f64 v[128:129], v[65:66], s[36:37], v[144:145]
	v_mul_f64 v[132:133], v[69:70], s[48:49]
	v_add_f64 v[126:127], v[148:149], v[126:127]
	v_fma_f64 v[134:135], v[57:58], s[14:15], -v[150:151]
	v_mul_f64 v[136:137], v[63:64], s[44:45]
	v_fma_f64 v[138:139], v[81:82], s[18:19], -v[146:147]
	v_add_f64 v[111:112], v[122:123], v[111:112]
	v_fma_f64 v[122:123], v[77:78], s[26:27], v[130:131]
	v_add_f64 v[124:125], v[128:129], v[124:125]
	v_fma_f64 v[128:129], v[59:60], s[14:15], v[132:133]
	v_mul_f64 v[130:131], v[61:62], s[44:45]
	v_add_f64 v[126:127], v[134:135], v[126:127]
	v_fma_f64 v[134:135], v[51:52], s[20:21], -v[136:137]
	v_add_f64 v[109:110], v[138:139], v[109:110]
	v_fma_f64 v[138:139], v[75:76], s[26:27], -v[140:141]
	v_add_f64 v[111:112], v[122:123], v[111:112]
	v_fma_f64 v[122:123], v[67:68], s[36:37], v[142:143]
	v_add_f64 v[124:125], v[128:129], v[124:125]
	v_fma_f64 v[128:129], v[53:54], s[20:21], v[130:131]
	v_mul_f64 v[140:141], v[55:56], s[38:39]
	v_add_f64 v[126:127], v[134:135], v[126:127]
	v_mul_f64 v[134:135], v[49:50], s[38:39]
	v_add_f64 v[109:110], v[138:139], v[109:110]
	v_fma_f64 v[138:139], v[65:66], s[36:37], -v[144:145]
	v_add_f64 v[111:112], v[122:123], v[111:112]
	v_fma_f64 v[122:123], v[57:58], s[14:15], v[150:151]
	v_add_f64 v[124:125], v[128:129], v[124:125]
	v_fma_f64 v[128:129], v[41:42], s[42:43], -v[140:141]
	v_mul_f64 v[142:143], v[47:48], s[46:47]
	v_fma_f64 v[144:145], v[43:44], s[42:43], v[134:135]
	v_mul_f64 v[146:147], v[45:46], s[46:47]
	v_add_f64 v[109:110], v[138:139], v[109:110]
	v_fma_f64 v[132:133], v[59:60], s[14:15], -v[132:133]
	v_add_f64 v[111:112], v[122:123], v[111:112]
	v_fma_f64 v[122:123], v[51:52], s[20:21], v[136:137]
	v_add_f64 v[126:127], v[128:129], v[126:127]
	v_fma_f64 v[128:129], v[39:40], s[16:17], -v[142:143]
	v_add_f64 v[124:125], v[144:145], v[124:125]
	v_fma_f64 v[136:137], v[37:38], s[16:17], v[146:147]
	v_mul_f64 v[138:139], v[91:92], s[46:47]
	v_add_f64 v[132:133], v[132:133], v[109:110]
	v_fma_f64 v[130:131], v[53:54], s[20:21], -v[130:131]
	v_add_f64 v[122:123], v[122:123], v[111:112]
	v_fma_f64 v[140:141], v[41:42], s[42:43], v[140:141]
	v_add_f64 v[109:110], v[128:129], v[126:127]
	v_mul_f64 v[126:127], v[89:90], s[46:47]
	v_add_f64 v[111:112], v[136:137], v[124:125]
	v_fma_f64 v[124:125], v[83:84], s[16:17], -v[138:139]
	v_mul_f64 v[128:129], v[87:88], s[40:41]
	v_add_f64 v[130:131], v[130:131], v[132:133]
	v_fma_f64 v[132:133], v[43:44], s[42:43], -v[134:135]
	v_add_f64 v[122:123], v[140:141], v[122:123]
	v_fma_f64 v[134:135], v[39:40], s[16:17], v[142:143]
	v_fma_f64 v[136:137], v[81:82], s[16:17], v[126:127]
	v_mul_f64 v[140:141], v[85:86], s[40:41]
	v_add_f64 v[107:108], v[124:125], v[107:108]
	v_fma_f64 v[124:125], v[77:78], s[14:15], -v[128:129]
	v_mul_f64 v[142:143], v[79:80], s[58:59]
	v_add_f64 v[130:131], v[132:133], v[130:131]
	v_fma_f64 v[132:133], v[37:38], s[16:17], -v[146:147]
	v_add_f64 v[122:123], v[134:135], v[122:123]
	v_add_f64 v[105:106], v[136:137], v[105:106]
	v_fma_f64 v[134:135], v[75:76], s[14:15], v[140:141]
	v_mul_f64 v[136:137], v[73:74], s[58:59]
	v_fma_f64 v[126:127], v[81:82], s[16:17], -v[126:127]
	v_add_f64 v[107:108], v[124:125], v[107:108]
	v_fma_f64 v[144:145], v[67:68], s[24:25], -v[142:143]
	v_mul_f64 v[146:147], v[71:72], s[34:35]
	v_fma_f64 v[138:139], v[83:84], s[16:17], v[138:139]
	v_add_f64 v[124:125], v[132:133], v[130:131]
	v_add_f64 v[105:106], v[134:135], v[105:106]
	v_fma_f64 v[130:131], v[65:66], s[24:25], v[136:137]
	v_mul_f64 v[132:133], v[69:70], s[34:35]
	v_add_f64 v[101:102], v[126:127], v[101:102]
	v_fma_f64 v[126:127], v[75:76], s[14:15], -v[140:141]
	v_add_f64 v[107:108], v[144:145], v[107:108]
	v_fma_f64 v[134:135], v[57:58], s[26:27], -v[146:147]
	v_add_f64 v[103:104], v[138:139], v[103:104]
	v_mul_f64 v[138:139], v[63:64], s[38:39]
	v_add_f64 v[105:106], v[130:131], v[105:106]
	v_fma_f64 v[130:131], v[59:60], s[26:27], v[132:133]
	v_mul_f64 v[140:141], v[61:62], s[38:39]
	v_add_f64 v[101:102], v[126:127], v[101:102]
	v_fma_f64 v[126:127], v[65:66], s[24:25], -v[136:137]
	v_add_f64 v[107:108], v[134:135], v[107:108]
	v_mul_f64 v[136:137], v[55:56], s[52:53]
	v_mul_f64 v[91:92], v[91:92], s[50:51]
	;; [unrolled: 1-line block ×3, first 2 shown]
	v_add_f64 v[105:106], v[130:131], v[105:106]
	v_fma_f64 v[130:131], v[51:52], s[42:43], -v[138:139]
	v_fma_f64 v[134:135], v[53:54], s[42:43], v[140:141]
	v_add_f64 v[101:102], v[126:127], v[101:102]
	v_fma_f64 v[126:127], v[59:60], s[26:27], -v[132:133]
	v_mul_f64 v[87:88], v[87:88], s[30:31]
	v_fma_f64 v[128:129], v[77:78], s[14:15], v[128:129]
	v_mul_f64 v[85:86], v[85:86], s[30:31]
	v_mul_f64 v[79:80], v[79:80], s[52:53]
	v_add_f64 v[107:108], v[130:131], v[107:108]
	v_add_f64 v[105:106], v[134:135], v[105:106]
	v_fma_f64 v[130:131], v[41:42], s[20:21], -v[136:137]
	v_add_f64 v[101:102], v[126:127], v[101:102]
	v_fma_f64 v[126:127], v[53:54], s[42:43], -v[140:141]
	v_fma_f64 v[134:135], v[83:84], s[26:27], -v[91:92]
	v_fma_f64 v[83:84], v[83:84], s[26:27], v[91:92]
	v_add_f64 v[103:104], v[128:129], v[103:104]
	v_fma_f64 v[128:129], v[67:68], s[24:25], v[142:143]
	v_mul_f64 v[73:74], v[73:74], s[52:53]
	v_add_f64 v[107:108], v[130:131], v[107:108]
	v_fma_f64 v[130:131], v[77:78], s[36:37], -v[87:88]
	v_add_f64 v[101:102], v[126:127], v[101:102]
	v_fma_f64 v[126:127], v[81:82], s[26:27], v[89:90]
	v_add_f64 v[99:100], v[134:135], v[99:100]
	v_fma_f64 v[81:82], v[81:82], s[26:27], -v[89:90]
	v_add_f64 v[83:84], v[83:84], v[97:98]
	v_fma_f64 v[77:78], v[77:78], s[36:37], v[87:88]
	v_add_f64 v[103:104], v[128:129], v[103:104]
	v_fma_f64 v[128:129], v[57:58], s[26:27], v[146:147]
	v_mul_f64 v[71:72], v[71:72], s[28:29]
	v_add_f64 v[93:94], v[126:127], v[93:94]
	v_add_f64 v[89:90], v[130:131], v[99:100]
	v_fma_f64 v[99:100], v[75:76], s[36:37], v[85:86]
	v_add_f64 v[81:82], v[81:82], v[95:96]
	v_fma_f64 v[75:76], v[75:76], s[36:37], -v[85:86]
	v_fma_f64 v[126:127], v[67:68], s[20:21], -v[79:80]
	v_add_f64 v[77:78], v[77:78], v[83:84]
	v_fma_f64 v[83:84], v[65:66], s[20:21], v[73:74]
	v_mul_f64 v[69:70], v[69:70], s[28:29]
	v_fma_f64 v[67:68], v[67:68], s[20:21], v[79:80]
	v_add_f64 v[93:94], v[99:100], v[93:94]
	v_fma_f64 v[65:66], v[65:66], s[20:21], -v[73:74]
	v_add_f64 v[75:76], v[75:76], v[81:82]
	v_add_f64 v[103:104], v[128:129], v[103:104]
	v_fma_f64 v[128:129], v[51:52], s[42:43], v[138:139]
	v_add_f64 v[89:90], v[126:127], v[89:90]
	v_mul_f64 v[63:64], v[63:64], s[46:47]
	v_mul_f64 v[61:62], v[61:62], s[46:47]
	v_add_f64 v[73:74], v[83:84], v[93:94]
	v_fma_f64 v[83:84], v[57:58], s[24:25], -v[71:72]
	v_fma_f64 v[93:94], v[59:60], s[24:25], v[69:70]
	v_add_f64 v[67:68], v[67:68], v[77:78]
	v_add_f64 v[65:66], v[65:66], v[75:76]
	v_fma_f64 v[57:58], v[57:58], s[24:25], v[71:72]
	v_fma_f64 v[59:60], v[59:60], s[24:25], -v[69:70]
	v_mul_f64 v[142:143], v[49:50], s[52:53]
	v_add_f64 v[103:104], v[128:129], v[103:104]
	v_fma_f64 v[128:129], v[41:42], s[20:21], v[136:137]
	v_add_f64 v[69:70], v[83:84], v[89:90]
	v_add_f64 v[71:72], v[93:94], v[73:74]
	v_fma_f64 v[73:74], v[51:52], s[16:17], -v[63:64]
	v_fma_f64 v[75:76], v[53:54], s[16:17], v[61:62]
	v_mul_f64 v[55:56], v[55:56], s[22:23]
	v_mul_f64 v[49:50], v[49:50], s[22:23]
	v_add_f64 v[57:58], v[57:58], v[67:68]
	v_add_f64 v[59:60], v[59:60], v[65:66]
	v_fma_f64 v[51:52], v[51:52], s[16:17], v[63:64]
	v_fma_f64 v[53:54], v[53:54], s[16:17], -v[61:62]
	v_fma_f64 v[132:133], v[43:44], s[20:21], v[142:143]
	v_mul_f64 v[85:86], v[47:48], s[22:23]
	v_mul_f64 v[79:80], v[45:46], s[22:23]
	v_add_f64 v[91:92], v[128:129], v[103:104]
	v_fma_f64 v[103:104], v[43:44], s[20:21], -v[142:143]
	v_add_f64 v[61:62], v[73:74], v[69:70]
	v_add_f64 v[63:64], v[75:76], v[71:72]
	v_fma_f64 v[65:66], v[41:42], s[18:19], -v[55:56]
	v_fma_f64 v[67:68], v[43:44], s[18:19], v[49:50]
	v_mul_f64 v[47:48], v[47:48], s[48:49]
	v_mul_f64 v[45:46], v[45:46], s[48:49]
	v_add_f64 v[51:52], v[51:52], v[57:58]
	v_add_f64 v[53:54], v[53:54], v[59:60]
	v_fma_f64 v[41:42], v[41:42], s[18:19], v[55:56]
	v_fma_f64 v[43:44], v[43:44], s[18:19], -v[49:50]
	v_add_f64 v[105:106], v[132:133], v[105:106]
	v_fma_f64 v[81:82], v[39:40], s[18:19], -v[85:86]
	v_fma_f64 v[77:78], v[37:38], s[18:19], v[79:80]
	v_add_f64 v[87:88], v[103:104], v[101:102]
	v_fma_f64 v[49:50], v[39:40], s[18:19], v[85:86]
	v_fma_f64 v[55:56], v[37:38], s[18:19], -v[79:80]
	v_add_f64 v[57:58], v[65:66], v[61:62]
	v_add_f64 v[59:60], v[67:68], v[63:64]
	v_fma_f64 v[61:62], v[39:40], s[14:15], -v[47:48]
	v_fma_f64 v[63:64], v[37:38], s[14:15], v[45:46]
	v_add_f64 v[51:52], v[41:42], v[51:52]
	v_add_f64 v[53:54], v[43:44], v[53:54]
	v_fma_f64 v[65:66], v[39:40], s[14:15], v[47:48]
	v_fma_f64 v[67:68], v[37:38], s[14:15], -v[45:46]
	s_mul_i32 s60, s60, s10
	s_mul_i32 s10, s9, s1
	s_mul_hi_u32 s11, s8, s1
	s_add_i32 s11, s11, s10
	s_mul_i32 s10, s8, s1
	s_add_u32 s10, s10, s60
	s_mul_i32 s13, s13, s33
	s_mul_hi_u32 s14, s12, s33
	s_addc_u32 s11, s11, 0
	s_add_i32 s14, s14, s13
	s_mul_i32 s12, s12, s33
	v_add_f64 v[37:38], v[81:82], v[107:108]
	v_add_f64 v[39:40], v[77:78], v[105:106]
	s_add_u32 s10, s10, s12
	s_mov_b32 s12, 0x2222223
	v_add_f64 v[41:42], v[49:50], v[91:92]
	v_add_f64 v[43:44], v[55:56], v[87:88]
	;; [unrolled: 1-line block ×6, first 2 shown]
	s_barrier
	ds_write_b128 v121, v[5:8]
	ds_write_b128 v121, v[1:4] offset:16
	ds_write_b128 v121, v[17:20] offset:32
	;; [unrolled: 1-line block ×16, first 2 shown]
	v_mul_hi_u32 v9, v0, s12
	s_addc_u32 s11, s11, s14
	s_andn2_b64 vcc, exec, s[6:7]
	s_waitcnt lgkmcnt(0)
	v_mul_u32_u24_e32 v1, 0x78, v9
	v_sub_u32_e32 v10, v0, v1
	s_barrier
	s_cbranch_vccnz .LBB0_10
; %bb.7:
	v_mad_u64_u32 v[2:3], s[6:7], s8, v10, 0
	v_mul_lo_u32 v5, v9, s2
	v_mov_b32_e32 v6, 0
	v_mov_b32_e32 v1, v3
	v_mad_u64_u32 v[3:4], s[6:7], s9, v10, v[1:2]
	s_lshl_b64 s[6:7], s[10:11], 4
	v_mul_i32_i24_e32 v1, 0x120, v10
	v_lshlrev_b32_e32 v4, 4, v9
	s_add_u32 s6, s4, s6
	v_lshlrev_b64 v[2:3], 4, v[2:3]
	v_add3_u32 v1, 0, v1, v4
	s_addc_u32 s7, s5, s7
	v_mov_b32_e32 v4, s7
	v_add_co_u32_e32 v11, vcc, s6, v2
	ds_read_b128 v[13:16], v1
	v_addc_co_u32_e32 v12, vcc, v4, v3, vcc
	v_lshlrev_b64 v[2:3], 4, v[5:6]
	v_add_u32_e32 v5, s2, v5
	v_add_co_u32_e32 v2, vcc, v11, v2
	v_addc_co_u32_e32 v3, vcc, v12, v3, vcc
	ds_read_b128 v[17:20], v1 offset:16
	ds_read_b128 v[21:24], v1 offset:32
	;; [unrolled: 1-line block ×3, first 2 shown]
	s_waitcnt lgkmcnt(3)
	global_store_dwordx4 v[2:3], v[13:16], off
	v_lshlrev_b64 v[2:3], 4, v[5:6]
	v_add_u32_e32 v5, s2, v5
	v_add_co_u32_e32 v2, vcc, v11, v2
	v_addc_co_u32_e32 v3, vcc, v12, v3, vcc
	s_waitcnt lgkmcnt(2)
	global_store_dwordx4 v[2:3], v[17:20], off
	v_lshlrev_b64 v[2:3], 4, v[5:6]
	v_add_u32_e32 v5, s2, v5
	v_add_co_u32_e32 v2, vcc, v11, v2
	v_addc_co_u32_e32 v3, vcc, v12, v3, vcc
	;; [unrolled: 6-line block ×3, first 2 shown]
	ds_read_b128 v[13:16], v1 offset:64
	ds_read_b128 v[17:20], v1 offset:80
	s_waitcnt lgkmcnt(2)
	global_store_dwordx4 v[2:3], v[25:28], off
	v_lshlrev_b64 v[2:3], 4, v[5:6]
	v_add_u32_e32 v5, s2, v5
	v_add_co_u32_e32 v2, vcc, v11, v2
	v_addc_co_u32_e32 v3, vcc, v12, v3, vcc
	s_waitcnt lgkmcnt(1)
	global_store_dwordx4 v[2:3], v[13:16], off
	v_lshlrev_b64 v[2:3], 4, v[5:6]
	v_add_u32_e32 v5, s2, v5
	v_add_co_u32_e32 v2, vcc, v11, v2
	v_addc_co_u32_e32 v3, vcc, v12, v3, vcc
	ds_read_b128 v[13:16], v1 offset:96
	s_waitcnt lgkmcnt(1)
	global_store_dwordx4 v[2:3], v[17:20], off
	ds_read_b128 v[17:20], v1 offset:112
	v_lshlrev_b64 v[2:3], 4, v[5:6]
	v_add_u32_e32 v5, s2, v5
	v_add_co_u32_e32 v2, vcc, v11, v2
	v_addc_co_u32_e32 v3, vcc, v12, v3, vcc
	s_waitcnt lgkmcnt(1)
	global_store_dwordx4 v[2:3], v[13:16], off
	v_lshlrev_b64 v[2:3], 4, v[5:6]
	v_add_u32_e32 v5, s2, v5
	v_add_co_u32_e32 v2, vcc, v11, v2
	v_addc_co_u32_e32 v3, vcc, v12, v3, vcc
	ds_read_b128 v[13:16], v1 offset:128
	s_waitcnt lgkmcnt(1)
	global_store_dwordx4 v[2:3], v[17:20], off
	ds_read_b128 v[17:20], v1 offset:144
	;; [unrolled: 14-line block ×5, first 2 shown]
	v_lshlrev_b64 v[2:3], 4, v[5:6]
	v_add_u32_e32 v5, s2, v5
	v_add_co_u32_e32 v2, vcc, v11, v2
	v_addc_co_u32_e32 v3, vcc, v12, v3, vcc
	s_waitcnt lgkmcnt(1)
	global_store_dwordx4 v[2:3], v[13:16], off
	v_lshlrev_b64 v[2:3], 4, v[5:6]
	v_add_u32_e32 v5, s2, v5
	v_add_co_u32_e32 v2, vcc, v11, v2
	v_addc_co_u32_e32 v3, vcc, v12, v3, vcc
	s_waitcnt lgkmcnt(0)
	global_store_dwordx4 v[2:3], v[17:20], off
	ds_read_b128 v[13:16], v1 offset:256
	v_lshlrev_b64 v[2:3], 4, v[5:6]
	s_mov_b64 s[12:13], 0
	v_add_co_u32_e32 v2, vcc, v11, v2
	v_addc_co_u32_e32 v3, vcc, v12, v3, vcc
	v_cmp_gt_u32_e32 vcc, s3, v0
	s_mov_b64 s[6:7], 0
	s_waitcnt lgkmcnt(0)
	global_store_dwordx4 v[2:3], v[13:16], off
                                        ; implicit-def: $vgpr3_vgpr4
                                        ; implicit-def: $vgpr7_vgpr8
	s_and_saveexec_b64 s[14:15], vcc
	s_cbranch_execz .LBB0_9
; %bb.8:
	v_add_u32_e32 v5, s2, v5
	ds_read_b128 v[1:4], v1 offset:272
	v_lshlrev_b64 v[5:6], 4, v[5:6]
	s_mov_b64 s[6:7], exec
	v_add_co_u32_e32 v7, vcc, v11, v5
	v_addc_co_u32_e32 v8, vcc, v12, v6, vcc
	s_waitcnt lgkmcnt(0)
	global_store_dwordx2 v[7:8], v[1:2], off
.LBB0_9:
	s_or_b64 exec, exec, s[14:15]
	s_and_b64 vcc, exec, s[12:13]
	s_cbranch_vccnz .LBB0_11
	s_branch .LBB0_16
.LBB0_10:
	s_mov_b64 s[6:7], 0
                                        ; implicit-def: $vgpr3_vgpr4
                                        ; implicit-def: $vgpr7_vgpr8
	s_cbranch_execz .LBB0_16
.LBB0_11:
	v_add_u32_e32 v1, s1, v10
	v_cmp_gt_u32_e32 vcc, s0, v1
                                        ; implicit-def: $vgpr3_vgpr4
                                        ; implicit-def: $vgpr7_vgpr8
	s_and_saveexec_b64 s[12:13], vcc
	s_cbranch_execz .LBB0_15
; %bb.12:
	v_mad_u64_u32 v[2:3], s[14:15], s8, v10, 0
	v_mul_lo_u32 v5, v9, s2
	s_movk_i32 s1, 0x120
	v_mov_b32_e32 v1, v3
	v_mad_u64_u32 v[3:4], s[8:9], s9, v10, v[1:2]
	s_lshl_b64 s[8:9], s[10:11], 4
	v_mad_i32_i24 v1, v10, s1, 0
	s_add_u32 s1, s4, s8
	v_lshlrev_b64 v[2:3], 4, v[2:3]
	v_lshl_add_u32 v4, v9, 4, v1
	s_addc_u32 s3, s5, s9
	v_mov_b32_e32 v6, 0
	v_mov_b32_e32 v7, s3
	v_add_co_u32_e32 v9, vcc, s1, v2
	ds_read_b128 v[11:14], v4
	v_addc_co_u32_e32 v10, vcc, v7, v3, vcc
	v_lshlrev_b64 v[2:3], 4, v[5:6]
	v_add_u32_e32 v5, s2, v5
	v_add_co_u32_e32 v2, vcc, v9, v2
	v_addc_co_u32_e32 v3, vcc, v10, v3, vcc
	ds_read_b128 v[15:18], v4 offset:16
	ds_read_b128 v[19:22], v4 offset:32
	;; [unrolled: 1-line block ×3, first 2 shown]
	s_waitcnt lgkmcnt(3)
	global_store_dwordx4 v[2:3], v[11:14], off
	v_lshlrev_b64 v[2:3], 4, v[5:6]
	v_add_u32_e32 v5, s2, v5
	v_add_co_u32_e32 v2, vcc, v9, v2
	v_addc_co_u32_e32 v3, vcc, v10, v3, vcc
	s_waitcnt lgkmcnt(2)
	global_store_dwordx4 v[2:3], v[15:18], off
	v_lshlrev_b64 v[2:3], 4, v[5:6]
	v_add_u32_e32 v5, s2, v5
	v_add_co_u32_e32 v2, vcc, v9, v2
	v_addc_co_u32_e32 v3, vcc, v10, v3, vcc
	;; [unrolled: 6-line block ×3, first 2 shown]
	ds_read_b128 v[11:14], v4 offset:64
	ds_read_b128 v[15:18], v4 offset:80
	s_waitcnt lgkmcnt(2)
	global_store_dwordx4 v[2:3], v[23:26], off
	v_lshlrev_b64 v[2:3], 4, v[5:6]
	v_add_u32_e32 v5, s2, v5
	v_add_co_u32_e32 v2, vcc, v9, v2
	v_addc_co_u32_e32 v3, vcc, v10, v3, vcc
	s_waitcnt lgkmcnt(1)
	global_store_dwordx4 v[2:3], v[11:14], off
	v_lshlrev_b64 v[2:3], 4, v[5:6]
	v_add_u32_e32 v5, s2, v5
	v_add_co_u32_e32 v2, vcc, v9, v2
	v_addc_co_u32_e32 v3, vcc, v10, v3, vcc
	ds_read_b128 v[11:14], v4 offset:96
	s_waitcnt lgkmcnt(1)
	global_store_dwordx4 v[2:3], v[15:18], off
	ds_read_b128 v[15:18], v4 offset:112
	v_lshlrev_b64 v[2:3], 4, v[5:6]
	v_add_u32_e32 v5, s2, v5
	v_add_co_u32_e32 v2, vcc, v9, v2
	v_addc_co_u32_e32 v3, vcc, v10, v3, vcc
	s_waitcnt lgkmcnt(1)
	global_store_dwordx4 v[2:3], v[11:14], off
	v_lshlrev_b64 v[2:3], 4, v[5:6]
	v_add_u32_e32 v5, s2, v5
	v_add_co_u32_e32 v2, vcc, v9, v2
	v_addc_co_u32_e32 v3, vcc, v10, v3, vcc
	ds_read_b128 v[11:14], v4 offset:128
	s_waitcnt lgkmcnt(1)
	global_store_dwordx4 v[2:3], v[15:18], off
	ds_read_b128 v[15:18], v4 offset:144
	;; [unrolled: 14-line block ×5, first 2 shown]
	v_lshlrev_b64 v[2:3], 4, v[5:6]
	v_add_u32_e32 v5, s2, v5
	v_add_co_u32_e32 v2, vcc, v9, v2
	v_addc_co_u32_e32 v3, vcc, v10, v3, vcc
	s_waitcnt lgkmcnt(1)
	global_store_dwordx4 v[2:3], v[11:14], off
	v_lshlrev_b64 v[2:3], 4, v[5:6]
	v_add_u32_e32 v5, s2, v5
	v_add_co_u32_e32 v2, vcc, v9, v2
	v_addc_co_u32_e32 v3, vcc, v10, v3, vcc
	s_waitcnt lgkmcnt(0)
	global_store_dwordx4 v[2:3], v[15:18], off
	ds_read_b128 v[11:14], v4 offset:256
	v_lshlrev_b64 v[2:3], 4, v[5:6]
	s_mul_hi_u32 s1, s0, 0x88888889
	s_lshr_b32 s1, s1, 6
	v_add_co_u32_e32 v2, vcc, v9, v2
	s_mulk_i32 s1, 0x78
	v_addc_co_u32_e32 v3, vcc, v10, v3, vcc
	s_sub_i32 s0, s0, s1
	v_cmp_gt_u32_e32 vcc, s0, v0
	s_mov_b64 s[4:5], s[6:7]
	s_waitcnt lgkmcnt(0)
	global_store_dwordx4 v[2:3], v[11:14], off
                                        ; implicit-def: $vgpr3_vgpr4
                                        ; implicit-def: $vgpr7_vgpr8
	s_and_saveexec_b64 s[0:1], vcc
	s_cbranch_execz .LBB0_14
; %bb.13:
	v_add_u32_e32 v5, s2, v5
	ds_read_b128 v[1:4], v1 offset:272
	v_lshlrev_b64 v[5:6], 4, v[5:6]
	s_or_b64 s[4:5], s[6:7], exec
	v_add_co_u32_e32 v7, vcc, v9, v5
	v_addc_co_u32_e32 v8, vcc, v10, v6, vcc
	s_waitcnt lgkmcnt(0)
	global_store_dwordx2 v[7:8], v[1:2], off
.LBB0_14:
	s_or_b64 exec, exec, s[0:1]
	s_andn2_b64 s[0:1], s[6:7], exec
	s_and_b64 s[2:3], s[4:5], exec
	s_or_b64 s[6:7], s[0:1], s[2:3]
.LBB0_15:
	s_or_b64 exec, exec, s[12:13]
.LBB0_16:
	s_and_saveexec_b64 s[0:1], s[6:7]
	s_cbranch_execnz .LBB0_18
; %bb.17:
	s_endpgm
.LBB0_18:
	global_store_dwordx2 v[7:8], v[3:4], off offset:8
	s_endpgm
	.section	.rodata,"a",@progbits
	.p2align	6, 0x0
	.amdhsa_kernel fft_rtc_fwd_len17_factors_17_wgs_120_tpt_1_dp_op_CI_CI_sbrc_erc_z_xy_unaligned
		.amdhsa_group_segment_fixed_size 0
		.amdhsa_private_segment_fixed_size 0
		.amdhsa_kernarg_size 104
		.amdhsa_user_sgpr_count 6
		.amdhsa_user_sgpr_private_segment_buffer 1
		.amdhsa_user_sgpr_dispatch_ptr 0
		.amdhsa_user_sgpr_queue_ptr 0
		.amdhsa_user_sgpr_kernarg_segment_ptr 1
		.amdhsa_user_sgpr_dispatch_id 0
		.amdhsa_user_sgpr_flat_scratch_init 0
		.amdhsa_user_sgpr_private_segment_size 0
		.amdhsa_uses_dynamic_stack 0
		.amdhsa_system_sgpr_private_segment_wavefront_offset 0
		.amdhsa_system_sgpr_workgroup_id_x 1
		.amdhsa_system_sgpr_workgroup_id_y 0
		.amdhsa_system_sgpr_workgroup_id_z 0
		.amdhsa_system_sgpr_workgroup_info 0
		.amdhsa_system_vgpr_workitem_id 0
		.amdhsa_next_free_vgpr 164
		.amdhsa_next_free_sgpr 61
		.amdhsa_reserve_vcc 1
		.amdhsa_reserve_flat_scratch 0
		.amdhsa_float_round_mode_32 0
		.amdhsa_float_round_mode_16_64 0
		.amdhsa_float_denorm_mode_32 3
		.amdhsa_float_denorm_mode_16_64 3
		.amdhsa_dx10_clamp 1
		.amdhsa_ieee_mode 1
		.amdhsa_fp16_overflow 0
		.amdhsa_exception_fp_ieee_invalid_op 0
		.amdhsa_exception_fp_denorm_src 0
		.amdhsa_exception_fp_ieee_div_zero 0
		.amdhsa_exception_fp_ieee_overflow 0
		.amdhsa_exception_fp_ieee_underflow 0
		.amdhsa_exception_fp_ieee_inexact 0
		.amdhsa_exception_int_div_zero 0
	.end_amdhsa_kernel
	.text
.Lfunc_end0:
	.size	fft_rtc_fwd_len17_factors_17_wgs_120_tpt_1_dp_op_CI_CI_sbrc_erc_z_xy_unaligned, .Lfunc_end0-fft_rtc_fwd_len17_factors_17_wgs_120_tpt_1_dp_op_CI_CI_sbrc_erc_z_xy_unaligned
                                        ; -- End function
	.section	.AMDGPU.csdata,"",@progbits
; Kernel info:
; codeLenInByte = 11080
; NumSgprs: 65
; NumVgprs: 164
; ScratchSize: 0
; MemoryBound: 0
; FloatMode: 240
; IeeeMode: 1
; LDSByteSize: 0 bytes/workgroup (compile time only)
; SGPRBlocks: 8
; VGPRBlocks: 40
; NumSGPRsForWavesPerEU: 65
; NumVGPRsForWavesPerEU: 164
; Occupancy: 1
; WaveLimiterHint : 1
; COMPUTE_PGM_RSRC2:SCRATCH_EN: 0
; COMPUTE_PGM_RSRC2:USER_SGPR: 6
; COMPUTE_PGM_RSRC2:TRAP_HANDLER: 0
; COMPUTE_PGM_RSRC2:TGID_X_EN: 1
; COMPUTE_PGM_RSRC2:TGID_Y_EN: 0
; COMPUTE_PGM_RSRC2:TGID_Z_EN: 0
; COMPUTE_PGM_RSRC2:TIDIG_COMP_CNT: 0
	.type	__hip_cuid_bd437eeb884eb881,@object ; @__hip_cuid_bd437eeb884eb881
	.section	.bss,"aw",@nobits
	.globl	__hip_cuid_bd437eeb884eb881
__hip_cuid_bd437eeb884eb881:
	.byte	0                               ; 0x0
	.size	__hip_cuid_bd437eeb884eb881, 1

	.ident	"AMD clang version 19.0.0git (https://github.com/RadeonOpenCompute/llvm-project roc-6.4.0 25133 c7fe45cf4b819c5991fe208aaa96edf142730f1d)"
	.section	".note.GNU-stack","",@progbits
	.addrsig
	.addrsig_sym __hip_cuid_bd437eeb884eb881
	.amdgpu_metadata
---
amdhsa.kernels:
  - .args:
      - .actual_access:  read_only
        .address_space:  global
        .offset:         0
        .size:           8
        .value_kind:     global_buffer
      - .offset:         8
        .size:           8
        .value_kind:     by_value
      - .actual_access:  read_only
        .address_space:  global
        .offset:         16
        .size:           8
        .value_kind:     global_buffer
      - .actual_access:  read_only
        .address_space:  global
        .offset:         24
        .size:           8
        .value_kind:     global_buffer
      - .actual_access:  read_only
        .address_space:  global
        .offset:         32
        .size:           8
        .value_kind:     global_buffer
      - .offset:         40
        .size:           8
        .value_kind:     by_value
      - .actual_access:  read_only
        .address_space:  global
        .offset:         48
        .size:           8
        .value_kind:     global_buffer
      - .actual_access:  read_only
        .address_space:  global
        .offset:         56
        .size:           8
        .value_kind:     global_buffer
      - .offset:         64
        .size:           4
        .value_kind:     by_value
      - .actual_access:  read_only
        .address_space:  global
        .offset:         72
        .size:           8
        .value_kind:     global_buffer
      - .actual_access:  read_only
        .address_space:  global
        .offset:         80
        .size:           8
        .value_kind:     global_buffer
      - .actual_access:  read_only
        .address_space:  global
        .offset:         88
        .size:           8
        .value_kind:     global_buffer
      - .actual_access:  write_only
        .address_space:  global
        .offset:         96
        .size:           8
        .value_kind:     global_buffer
    .group_segment_fixed_size: 0
    .kernarg_segment_align: 8
    .kernarg_segment_size: 104
    .language:       OpenCL C
    .language_version:
      - 2
      - 0
    .max_flat_workgroup_size: 120
    .name:           fft_rtc_fwd_len17_factors_17_wgs_120_tpt_1_dp_op_CI_CI_sbrc_erc_z_xy_unaligned
    .private_segment_fixed_size: 0
    .sgpr_count:     65
    .sgpr_spill_count: 0
    .symbol:         fft_rtc_fwd_len17_factors_17_wgs_120_tpt_1_dp_op_CI_CI_sbrc_erc_z_xy_unaligned.kd
    .uniform_work_group_size: 1
    .uses_dynamic_stack: false
    .vgpr_count:     164
    .vgpr_spill_count: 0
    .wavefront_size: 64
amdhsa.target:   amdgcn-amd-amdhsa--gfx906
amdhsa.version:
  - 1
  - 2
...

	.end_amdgpu_metadata
